;; amdgpu-corpus repo=ROCm/rocFFT kind=compiled arch=gfx1030 opt=O3
	.text
	.amdgcn_target "amdgcn-amd-amdhsa--gfx1030"
	.amdhsa_code_object_version 6
	.protected	fft_rtc_fwd_len2916_factors_6_6_3_3_3_3_wgs_243_tpt_243_halfLds_half_op_CI_CI_unitstride_sbrr_C2R_dirReg ; -- Begin function fft_rtc_fwd_len2916_factors_6_6_3_3_3_3_wgs_243_tpt_243_halfLds_half_op_CI_CI_unitstride_sbrr_C2R_dirReg
	.globl	fft_rtc_fwd_len2916_factors_6_6_3_3_3_3_wgs_243_tpt_243_halfLds_half_op_CI_CI_unitstride_sbrr_C2R_dirReg
	.p2align	8
	.type	fft_rtc_fwd_len2916_factors_6_6_3_3_3_3_wgs_243_tpt_243_halfLds_half_op_CI_CI_unitstride_sbrr_C2R_dirReg,@function
fft_rtc_fwd_len2916_factors_6_6_3_3_3_3_wgs_243_tpt_243_halfLds_half_op_CI_CI_unitstride_sbrr_C2R_dirReg: ; @fft_rtc_fwd_len2916_factors_6_6_3_3_3_3_wgs_243_tpt_243_halfLds_half_op_CI_CI_unitstride_sbrr_C2R_dirReg
; %bb.0:
	s_clause 0x2
	s_load_dwordx4 s[12:15], s[4:5], 0x0
	s_load_dwordx4 s[8:11], s[4:5], 0x58
	;; [unrolled: 1-line block ×3, first 2 shown]
	v_mul_u32_u24_e32 v1, 0x10e, v0
	v_mov_b32_e32 v3, 0
	v_mov_b32_e32 v7, 0
	;; [unrolled: 1-line block ×3, first 2 shown]
	v_add_nc_u32_sdwa v9, s6, v1 dst_sel:DWORD dst_unused:UNUSED_PAD src0_sel:DWORD src1_sel:WORD_1
	v_mov_b32_e32 v10, v3
	s_waitcnt lgkmcnt(0)
	v_cmp_lt_u64_e64 s0, s[14:15], 2
	s_and_b32 vcc_lo, exec_lo, s0
	s_cbranch_vccnz .LBB0_8
; %bb.1:
	s_load_dwordx2 s[0:1], s[4:5], 0x10
	v_mov_b32_e32 v7, 0
	v_mov_b32_e32 v8, 0
	s_add_u32 s2, s18, 8
	s_addc_u32 s3, s19, 0
	v_mov_b32_e32 v1, v7
	s_add_u32 s6, s16, 8
	v_mov_b32_e32 v2, v8
	s_addc_u32 s7, s17, 0
	s_mov_b64 s[22:23], 1
	s_waitcnt lgkmcnt(0)
	s_add_u32 s20, s0, 8
	s_addc_u32 s21, s1, 0
.LBB0_2:                                ; =>This Inner Loop Header: Depth=1
	s_load_dwordx2 s[24:25], s[20:21], 0x0
                                        ; implicit-def: $vgpr5_vgpr6
	s_mov_b32 s0, exec_lo
	s_waitcnt lgkmcnt(0)
	v_or_b32_e32 v4, s25, v10
	v_cmpx_ne_u64_e32 0, v[3:4]
	s_xor_b32 s1, exec_lo, s0
	s_cbranch_execz .LBB0_4
; %bb.3:                                ;   in Loop: Header=BB0_2 Depth=1
	v_cvt_f32_u32_e32 v4, s24
	v_cvt_f32_u32_e32 v5, s25
	s_sub_u32 s0, 0, s24
	s_subb_u32 s26, 0, s25
	v_fmac_f32_e32 v4, 0x4f800000, v5
	v_rcp_f32_e32 v4, v4
	v_mul_f32_e32 v4, 0x5f7ffffc, v4
	v_mul_f32_e32 v5, 0x2f800000, v4
	v_trunc_f32_e32 v5, v5
	v_fmac_f32_e32 v4, 0xcf800000, v5
	v_cvt_u32_f32_e32 v5, v5
	v_cvt_u32_f32_e32 v4, v4
	v_mul_lo_u32 v6, s0, v5
	v_mul_hi_u32 v11, s0, v4
	v_mul_lo_u32 v12, s26, v4
	v_add_nc_u32_e32 v6, v11, v6
	v_mul_lo_u32 v11, s0, v4
	v_add_nc_u32_e32 v6, v6, v12
	v_mul_hi_u32 v12, v4, v11
	v_mul_lo_u32 v13, v4, v6
	v_mul_hi_u32 v14, v4, v6
	v_mul_hi_u32 v15, v5, v11
	v_mul_lo_u32 v11, v5, v11
	v_mul_hi_u32 v16, v5, v6
	v_mul_lo_u32 v6, v5, v6
	v_add_co_u32 v12, vcc_lo, v12, v13
	v_add_co_ci_u32_e32 v13, vcc_lo, 0, v14, vcc_lo
	v_add_co_u32 v11, vcc_lo, v12, v11
	v_add_co_ci_u32_e32 v11, vcc_lo, v13, v15, vcc_lo
	v_add_co_ci_u32_e32 v12, vcc_lo, 0, v16, vcc_lo
	v_add_co_u32 v6, vcc_lo, v11, v6
	v_add_co_ci_u32_e32 v11, vcc_lo, 0, v12, vcc_lo
	v_add_co_u32 v4, vcc_lo, v4, v6
	v_add_co_ci_u32_e32 v5, vcc_lo, v5, v11, vcc_lo
	v_mul_hi_u32 v6, s0, v4
	v_mul_lo_u32 v12, s26, v4
	v_mul_lo_u32 v11, s0, v5
	v_add_nc_u32_e32 v6, v6, v11
	v_mul_lo_u32 v11, s0, v4
	v_add_nc_u32_e32 v6, v6, v12
	v_mul_hi_u32 v12, v4, v11
	v_mul_lo_u32 v13, v4, v6
	v_mul_hi_u32 v14, v4, v6
	v_mul_hi_u32 v15, v5, v11
	v_mul_lo_u32 v11, v5, v11
	v_mul_hi_u32 v16, v5, v6
	v_mul_lo_u32 v6, v5, v6
	v_add_co_u32 v12, vcc_lo, v12, v13
	v_add_co_ci_u32_e32 v13, vcc_lo, 0, v14, vcc_lo
	v_add_co_u32 v11, vcc_lo, v12, v11
	v_add_co_ci_u32_e32 v11, vcc_lo, v13, v15, vcc_lo
	v_add_co_ci_u32_e32 v12, vcc_lo, 0, v16, vcc_lo
	v_add_co_u32 v6, vcc_lo, v11, v6
	v_add_co_ci_u32_e32 v11, vcc_lo, 0, v12, vcc_lo
	v_add_co_u32 v6, vcc_lo, v4, v6
	v_add_co_ci_u32_e32 v13, vcc_lo, v5, v11, vcc_lo
	v_mul_hi_u32 v15, v9, v6
	v_mad_u64_u32 v[11:12], null, v10, v6, 0
	v_mad_u64_u32 v[4:5], null, v9, v13, 0
	;; [unrolled: 1-line block ×3, first 2 shown]
	v_add_co_u32 v4, vcc_lo, v15, v4
	v_add_co_ci_u32_e32 v5, vcc_lo, 0, v5, vcc_lo
	v_add_co_u32 v4, vcc_lo, v4, v11
	v_add_co_ci_u32_e32 v4, vcc_lo, v5, v12, vcc_lo
	v_add_co_ci_u32_e32 v5, vcc_lo, 0, v14, vcc_lo
	v_add_co_u32 v11, vcc_lo, v4, v13
	v_add_co_ci_u32_e32 v6, vcc_lo, 0, v5, vcc_lo
	v_mul_lo_u32 v12, s25, v11
	v_mad_u64_u32 v[4:5], null, s24, v11, 0
	v_mul_lo_u32 v13, s24, v6
	v_sub_co_u32 v4, vcc_lo, v9, v4
	v_add3_u32 v5, v5, v13, v12
	v_sub_nc_u32_e32 v12, v10, v5
	v_subrev_co_ci_u32_e64 v12, s0, s25, v12, vcc_lo
	v_add_co_u32 v13, s0, v11, 2
	v_add_co_ci_u32_e64 v14, s0, 0, v6, s0
	v_sub_co_u32 v15, s0, v4, s24
	v_sub_co_ci_u32_e32 v5, vcc_lo, v10, v5, vcc_lo
	v_subrev_co_ci_u32_e64 v12, s0, 0, v12, s0
	v_cmp_le_u32_e32 vcc_lo, s24, v15
	v_cmp_eq_u32_e64 s0, s25, v5
	v_cndmask_b32_e64 v15, 0, -1, vcc_lo
	v_cmp_le_u32_e32 vcc_lo, s25, v12
	v_cndmask_b32_e64 v16, 0, -1, vcc_lo
	v_cmp_le_u32_e32 vcc_lo, s24, v4
	;; [unrolled: 2-line block ×3, first 2 shown]
	v_cndmask_b32_e64 v17, 0, -1, vcc_lo
	v_cmp_eq_u32_e32 vcc_lo, s25, v12
	v_cndmask_b32_e64 v4, v17, v4, s0
	v_cndmask_b32_e32 v12, v16, v15, vcc_lo
	v_add_co_u32 v15, vcc_lo, v11, 1
	v_add_co_ci_u32_e32 v16, vcc_lo, 0, v6, vcc_lo
	v_cmp_ne_u32_e32 vcc_lo, 0, v12
	v_cndmask_b32_e32 v5, v16, v14, vcc_lo
	v_cndmask_b32_e32 v12, v15, v13, vcc_lo
	v_cmp_ne_u32_e32 vcc_lo, 0, v4
	v_cndmask_b32_e32 v6, v6, v5, vcc_lo
	v_cndmask_b32_e32 v5, v11, v12, vcc_lo
.LBB0_4:                                ;   in Loop: Header=BB0_2 Depth=1
	s_andn2_saveexec_b32 s0, s1
	s_cbranch_execz .LBB0_6
; %bb.5:                                ;   in Loop: Header=BB0_2 Depth=1
	v_cvt_f32_u32_e32 v4, s24
	s_sub_i32 s1, 0, s24
	v_rcp_iflag_f32_e32 v4, v4
	v_mul_f32_e32 v4, 0x4f7ffffe, v4
	v_cvt_u32_f32_e32 v4, v4
	v_mul_lo_u32 v5, s1, v4
	v_mul_hi_u32 v5, v4, v5
	v_add_nc_u32_e32 v4, v4, v5
	v_mul_hi_u32 v4, v9, v4
	v_mul_lo_u32 v5, v4, s24
	v_add_nc_u32_e32 v6, 1, v4
	v_sub_nc_u32_e32 v5, v9, v5
	v_subrev_nc_u32_e32 v11, s24, v5
	v_cmp_le_u32_e32 vcc_lo, s24, v5
	v_cndmask_b32_e32 v5, v5, v11, vcc_lo
	v_cndmask_b32_e32 v4, v4, v6, vcc_lo
	v_cmp_le_u32_e32 vcc_lo, s24, v5
	v_add_nc_u32_e32 v6, 1, v4
	v_cndmask_b32_e32 v5, v4, v6, vcc_lo
	v_mov_b32_e32 v6, v3
.LBB0_6:                                ;   in Loop: Header=BB0_2 Depth=1
	s_or_b32 exec_lo, exec_lo, s0
	v_mul_lo_u32 v4, v6, s24
	v_mul_lo_u32 v13, v5, s25
	s_load_dwordx2 s[0:1], s[6:7], 0x0
	v_mad_u64_u32 v[11:12], null, v5, s24, 0
	s_load_dwordx2 s[24:25], s[2:3], 0x0
	s_add_u32 s22, s22, 1
	s_addc_u32 s23, s23, 0
	s_add_u32 s2, s2, 8
	s_addc_u32 s3, s3, 0
	s_add_u32 s6, s6, 8
	v_add3_u32 v4, v12, v13, v4
	v_sub_co_u32 v9, vcc_lo, v9, v11
	s_addc_u32 s7, s7, 0
	s_add_u32 s20, s20, 8
	v_sub_co_ci_u32_e32 v4, vcc_lo, v10, v4, vcc_lo
	s_addc_u32 s21, s21, 0
	s_waitcnt lgkmcnt(0)
	v_mul_lo_u32 v10, s0, v4
	v_mul_lo_u32 v11, s1, v9
	v_mad_u64_u32 v[7:8], null, s0, v9, v[7:8]
	v_mul_lo_u32 v4, s24, v4
	v_mul_lo_u32 v12, s25, v9
	v_mad_u64_u32 v[1:2], null, s24, v9, v[1:2]
	v_cmp_ge_u64_e64 s0, s[22:23], s[14:15]
	v_add3_u32 v8, v11, v8, v10
	v_add3_u32 v2, v12, v2, v4
	s_and_b32 vcc_lo, exec_lo, s0
	s_cbranch_vccnz .LBB0_9
; %bb.7:                                ;   in Loop: Header=BB0_2 Depth=1
	v_mov_b32_e32 v10, v6
	v_mov_b32_e32 v9, v5
	s_branch .LBB0_2
.LBB0_8:
	v_mov_b32_e32 v1, v7
	v_mov_b32_e32 v5, v9
	;; [unrolled: 1-line block ×4, first 2 shown]
.LBB0_9:
	s_load_dwordx2 s[0:1], s[4:5], 0x28
	v_mul_hi_u32 v4, 0x10db20b, v0
	s_lshl_b64 s[4:5], s[14:15], 3
                                        ; implicit-def: $vgpr3
	s_add_u32 s2, s18, s4
	s_addc_u32 s3, s19, s5
	s_waitcnt lgkmcnt(0)
	v_cmp_gt_u64_e32 vcc_lo, s[0:1], v[5:6]
	v_cmp_le_u64_e64 s0, s[0:1], v[5:6]
	s_and_saveexec_b32 s1, s0
	s_xor_b32 s0, exec_lo, s1
; %bb.10:
	v_mul_u32_u24_e32 v3, 0xf3, v4
                                        ; implicit-def: $vgpr4
                                        ; implicit-def: $vgpr7_vgpr8
	v_sub_nc_u32_e32 v3, v0, v3
                                        ; implicit-def: $vgpr0
; %bb.11:
	s_or_saveexec_b32 s1, s0
	s_load_dwordx2 s[2:3], s[2:3], 0x0
	s_xor_b32 exec_lo, exec_lo, s1
	s_cbranch_execz .LBB0_15
; %bb.12:
	s_add_u32 s4, s16, s4
	s_addc_u32 s5, s17, s5
	v_lshlrev_b64 v[7:8], 2, v[7:8]
	s_load_dwordx2 s[4:5], s[4:5], 0x0
	s_waitcnt lgkmcnt(0)
	v_mul_lo_u32 v3, s5, v5
	v_mul_lo_u32 v11, s4, v6
	v_mad_u64_u32 v[9:10], null, s4, v5, 0
	s_mov_b32 s4, exec_lo
	v_add3_u32 v10, v10, v11, v3
	v_mul_u32_u24_e32 v3, 0xf3, v4
	v_lshlrev_b64 v[9:10], 2, v[9:10]
	v_sub_nc_u32_e32 v3, v0, v3
	v_lshlrev_b32_e32 v19, 2, v3
	v_add_co_u32 v0, s0, s8, v9
	v_add_co_ci_u32_e64 v4, s0, s9, v10, s0
	v_add_co_u32 v0, s0, v0, v7
	v_add_co_ci_u32_e64 v4, s0, v4, v8, s0
	;; [unrolled: 2-line block ×8, first 2 shown]
	s_clause 0xb
	global_load_dword v20, v[7:8], off
	global_load_dword v21, v[7:8], off offset:972
	global_load_dword v7, v[7:8], off offset:1944
	;; [unrolled: 1-line block ×11, first 2 shown]
	v_add_nc_u32_e32 v17, 0, v19
	v_add_nc_u32_e32 v18, 0x780, v17
	v_add_nc_u32_e32 v19, 0xf00, v17
	v_add_nc_u32_e32 v22, 0x16c0, v17
	v_add_nc_u32_e32 v23, 0x1e40, v17
	v_add_nc_u32_e32 v24, 0x25e0, v17
	s_waitcnt vmcnt(10)
	ds_write2_b32 v17, v20, v21 offset1:243
	s_waitcnt vmcnt(8)
	ds_write2_b32 v18, v7, v8 offset0:6 offset1:249
	s_waitcnt vmcnt(6)
	ds_write2_b32 v19, v9, v10 offset0:12 offset1:255
	;; [unrolled: 2-line block ×5, first 2 shown]
	v_cmpx_eq_u32_e32 0xf2, v3
	s_cbranch_execz .LBB0_14
; %bb.13:
	v_add_co_u32 v3, s0, 0x2800, v0
	v_add_co_ci_u32_e64 v4, s0, 0, v4, s0
	global_load_dword v0, v[3:4], off offset:1424
	v_mov_b32_e32 v4, 0
	v_mov_b32_e32 v3, 0xf2
	s_waitcnt vmcnt(0)
	ds_write_b32 v4, v0 offset:11664
.LBB0_14:
	s_or_b32 exec_lo, exec_lo, s4
.LBB0_15:
	s_or_b32 exec_lo, exec_lo, s1
	v_lshlrev_b32_e32 v4, 2, v3
	s_waitcnt lgkmcnt(0)
	s_barrier
	buffer_gl0_inv
	s_add_u32 s1, s12, 0x2d78
	v_add_nc_u32_e32 v0, 0, v4
	v_sub_nc_u32_e32 v14, 0, v4
	s_addc_u32 s4, s13, 0
	s_mov_b32 s5, exec_lo
                                        ; implicit-def: $vgpr7_vgpr8
	ds_read_u16 v11, v0
	ds_read_u16 v12, v14 offset:11664
	s_waitcnt lgkmcnt(0)
	v_add_f16_e32 v10, v12, v11
	v_sub_f16_e32 v9, v11, v12
	v_cmpx_ne_u32_e32 0, v3
	s_xor_b32 s5, exec_lo, s5
	s_cbranch_execz .LBB0_17
; %bb.16:
	v_mov_b32_e32 v4, 0
	v_add_f16_e32 v10, v12, v11
	v_sub_f16_e32 v11, v11, v12
	v_lshlrev_b64 v[7:8], 2, v[3:4]
	v_add_co_u32 v7, s0, s1, v7
	v_add_co_ci_u32_e64 v8, s0, s4, v8, s0
	global_load_dword v7, v[7:8], off
	ds_read_u16 v8, v14 offset:11666
	ds_read_u16 v9, v0 offset:2
	s_waitcnt lgkmcnt(0)
	v_add_f16_e32 v12, v8, v9
	v_sub_f16_e32 v8, v9, v8
	s_waitcnt vmcnt(0)
	v_lshrrev_b32_e32 v13, 16, v7
	v_fma_f16 v15, -v11, v13, v10
	v_fma_f16 v16, v12, v13, -v8
	v_fma_f16 v9, v12, v13, v8
	v_fma_f16 v10, v11, v13, v10
	v_fmac_f16_e32 v15, v7, v12
	v_fmac_f16_e32 v16, v11, v7
	v_fmac_f16_e32 v9, v11, v7
	v_fma_f16 v10, -v7, v12, v10
	v_mov_b32_e32 v8, v4
	v_mov_b32_e32 v7, v3
	v_pack_b32_f16 v11, v15, v16
	ds_write_b32 v14, v11 offset:11664
.LBB0_17:
	s_andn2_saveexec_b32 s0, s5
	s_cbranch_execz .LBB0_19
; %bb.18:
	v_mov_b32_e32 v4, 0
	ds_read_b32 v7, v4 offset:5832
	s_waitcnt lgkmcnt(0)
	v_pk_mul_f16 v11, 0xc0004000, v7
	v_mov_b32_e32 v7, 0
	v_mov_b32_e32 v8, 0
	ds_write_b32 v4, v11 offset:5832
.LBB0_19:
	s_or_b32 exec_lo, exec_lo, s0
	v_lshlrev_b64 v[7:8], 2, v[7:8]
	v_mov_b32_e32 v28, 5
	v_add_co_u32 v7, s0, s1, v7
	v_add_co_ci_u32_e64 v8, s0, s4, v8, s0
	s_clause 0x1
	global_load_dword v4, v[7:8], off offset:972
	global_load_dword v13, v[7:8], off offset:1944
	v_add_co_u32 v11, s0, 0x800, v7
	v_add_co_ci_u32_e64 v12, s0, 0, v8, s0
	s_clause 0x1
	global_load_dword v15, v[11:12], off offset:868
	global_load_dword v11, v[11:12], off offset:1840
	v_add_co_u32 v7, s0, 0x1000, v7
	v_add_co_ci_u32_e64 v8, s0, 0, v8, s0
	v_cmp_gt_u32_e64 s0, 0x51, v3
	global_load_dword v8, v[7:8], off offset:764
	v_perm_b32 v7, v9, v10, 0x5040100
	ds_write_b32 v0, v7
	ds_read_b32 v7, v0 offset:972
	ds_read_b32 v9, v14 offset:10692
	s_waitcnt lgkmcnt(0)
	v_add_f16_e32 v10, v7, v9
	v_add_f16_sdwa v12, v9, v7 dst_sel:DWORD dst_unused:UNUSED_PAD src0_sel:WORD_1 src1_sel:WORD_1
	v_sub_f16_e32 v16, v7, v9
	v_sub_f16_sdwa v7, v7, v9 dst_sel:DWORD dst_unused:UNUSED_PAD src0_sel:WORD_1 src1_sel:WORD_1
	s_waitcnt vmcnt(4)
	v_lshrrev_b32_e32 v17, 16, v4
	v_fma_f16 v9, v16, v17, v10
	v_fma_f16 v18, v12, v17, v7
	v_fma_f16 v10, -v16, v17, v10
	v_fma_f16 v7, v12, v17, -v7
	v_fma_f16 v9, -v4, v12, v9
	v_fmac_f16_e32 v18, v16, v4
	v_fmac_f16_e32 v10, v4, v12
	;; [unrolled: 1-line block ×3, first 2 shown]
	v_pack_b32_f16 v4, v9, v18
	s_waitcnt vmcnt(3)
	v_lshrrev_b32_e32 v9, 16, v13
	v_pack_b32_f16 v7, v10, v7
	ds_write_b32 v0, v4 offset:972
	ds_write_b32 v14, v7 offset:10692
	ds_read_b32 v4, v0 offset:1944
	ds_read_b32 v7, v14 offset:9720
	s_waitcnt lgkmcnt(0)
	v_add_f16_e32 v10, v4, v7
	v_add_f16_sdwa v12, v7, v4 dst_sel:DWORD dst_unused:UNUSED_PAD src0_sel:WORD_1 src1_sel:WORD_1
	v_sub_f16_e32 v16, v4, v7
	v_sub_f16_sdwa v4, v4, v7 dst_sel:DWORD dst_unused:UNUSED_PAD src0_sel:WORD_1 src1_sel:WORD_1
	v_fma_f16 v7, v16, v9, v10
	v_fma_f16 v17, v12, v9, v4
	v_fma_f16 v10, -v16, v9, v10
	v_fma_f16 v4, v12, v9, -v4
	s_waitcnt vmcnt(2)
	v_lshrrev_b32_e32 v9, 16, v15
	v_fma_f16 v7, -v13, v12, v7
	v_fmac_f16_e32 v17, v16, v13
	v_fmac_f16_e32 v10, v13, v12
	;; [unrolled: 1-line block ×3, first 2 shown]
	v_pack_b32_f16 v7, v7, v17
	v_pack_b32_f16 v4, v10, v4
	ds_write_b32 v0, v7 offset:1944
	ds_write_b32 v14, v4 offset:9720
	ds_read_b32 v4, v0 offset:2916
	ds_read_b32 v7, v14 offset:8748
	s_waitcnt lgkmcnt(0)
	v_add_f16_e32 v10, v4, v7
	v_add_f16_sdwa v12, v7, v4 dst_sel:DWORD dst_unused:UNUSED_PAD src0_sel:WORD_1 src1_sel:WORD_1
	v_sub_f16_e32 v13, v4, v7
	v_sub_f16_sdwa v4, v4, v7 dst_sel:DWORD dst_unused:UNUSED_PAD src0_sel:WORD_1 src1_sel:WORD_1
	v_fma_f16 v7, v13, v9, v10
	v_fma_f16 v16, v12, v9, v4
	v_fma_f16 v10, -v13, v9, v10
	v_fma_f16 v4, v12, v9, -v4
	s_waitcnt vmcnt(1)
	v_lshrrev_b32_e32 v9, 16, v11
	v_fma_f16 v7, -v15, v12, v7
	v_fmac_f16_e32 v16, v13, v15
	v_fmac_f16_e32 v10, v15, v12
	;; [unrolled: 1-line block ×3, first 2 shown]
	v_pack_b32_f16 v7, v7, v16
	v_pack_b32_f16 v4, v10, v4
	ds_write_b32 v0, v7 offset:2916
	ds_write_b32 v14, v4 offset:8748
	ds_read_b32 v4, v0 offset:3888
	ds_read_b32 v7, v14 offset:7776
	s_waitcnt lgkmcnt(0)
	v_add_f16_e32 v10, v4, v7
	v_add_f16_sdwa v12, v7, v4 dst_sel:DWORD dst_unused:UNUSED_PAD src0_sel:WORD_1 src1_sel:WORD_1
	v_sub_f16_e32 v13, v4, v7
	v_sub_f16_sdwa v4, v4, v7 dst_sel:DWORD dst_unused:UNUSED_PAD src0_sel:WORD_1 src1_sel:WORD_1
	v_fma_f16 v7, v13, v9, v10
	v_fma_f16 v15, v12, v9, v4
	v_fma_f16 v10, -v13, v9, v10
	v_fma_f16 v4, v12, v9, -v4
	v_fma_f16 v7, -v11, v12, v7
	v_fmac_f16_e32 v15, v13, v11
	v_fmac_f16_e32 v10, v11, v12
	;; [unrolled: 1-line block ×3, first 2 shown]
	s_waitcnt vmcnt(0)
	v_lshrrev_b32_e32 v11, 16, v8
	v_add_nc_u32_e32 v13, 0xf3, v3
	v_pack_b32_f16 v7, v7, v15
	v_pack_b32_f16 v4, v10, v4
	ds_write_b32 v0, v7 offset:3888
	ds_write_b32 v14, v4 offset:7776
	ds_read_b32 v7, v0 offset:4860
	ds_read_b32 v9, v14 offset:6804
	v_add_nc_u32_e32 v4, 0x780, v0
	v_add_nc_u32_e32 v10, 0x16c0, v0
	s_waitcnt lgkmcnt(0)
	v_add_f16_e32 v12, v7, v9
	v_add_f16_sdwa v15, v9, v7 dst_sel:DWORD dst_unused:UNUSED_PAD src0_sel:WORD_1 src1_sel:WORD_1
	v_sub_f16_e32 v16, v7, v9
	v_sub_f16_sdwa v17, v7, v9 dst_sel:DWORD dst_unused:UNUSED_PAD src0_sel:WORD_1 src1_sel:WORD_1
	v_and_b32_e32 v7, 0xff, v3
	v_add_nc_u32_e32 v9, 0xf00, v0
	v_fma_f16 v18, v16, v11, v12
	v_fma_f16 v19, v15, v11, v17
	v_fma_f16 v12, -v16, v11, v12
	v_fma_f16 v17, v15, v11, -v17
	v_mul_lo_u16 v20, 0xab, v7
	v_fma_f16 v18, -v8, v15, v18
	v_fmac_f16_e32 v19, v16, v8
	v_fmac_f16_e32 v12, v8, v15
	;; [unrolled: 1-line block ×3, first 2 shown]
	v_add_nc_u32_e32 v11, 0x1e40, v0
	v_mov_b32_e32 v8, 0xaaab
	v_pack_b32_f16 v15, v18, v19
	v_lshrrev_b16 v26, 10, v20
	v_pack_b32_f16 v16, v12, v17
	v_add_nc_u32_e32 v12, 0x25e0, v0
	ds_write_b32 v0, v15 offset:4860
	ds_write_b32 v14, v16 offset:6804
	s_waitcnt lgkmcnt(0)
	s_barrier
	buffer_gl0_inv
	s_barrier
	buffer_gl0_inv
	ds_read2_b32 v[14:15], v0 offset1:243
	ds_read2_b32 v[16:17], v4 offset0:6 offset1:249
	ds_read2_b32 v[18:19], v9 offset0:12 offset1:255
	;; [unrolled: 1-line block ×5, first 2 shown]
	v_mul_u32_u24_sdwa v8, v13, v8 dst_sel:DWORD dst_unused:UNUSED_PAD src0_sel:WORD_0 src1_sel:DWORD
	v_mul_lo_u16 v27, v26, 6
	s_waitcnt lgkmcnt(0)
	s_barrier
	buffer_gl0_inv
	v_lshrrev_b32_e32 v8, 18, v8
	v_sub_nc_u16 v36, v3, v27
	v_mad_u32_u24 v27, v3, 20, v0
	v_mul_lo_u16 v29, v8, 6
	v_mul_u32_u24_sdwa v30, v36, v28 dst_sel:DWORD dst_unused:UNUSED_PAD src0_sel:BYTE_0 src1_sel:DWORD
	v_add_nc_u32_e32 v32, 0x16d0, v27
	v_add_nc_u32_e32 v31, 0x16c8, v27
	;; [unrolled: 1-line block ×3, first 2 shown]
	v_sub_nc_u16 v37, v13, v29
	v_lshlrev_b32_e32 v29, 2, v30
	v_pk_add_f16 v30, v14, v18
	v_pk_add_f16 v35, v18, v22
	v_pk_add_f16 v18, v18, v22 neg_lo:[0,1] neg_hi:[0,1]
	v_pk_add_f16 v38, v20, v24
	v_pk_add_f16 v34, v16, v20
	;; [unrolled: 1-line block ×4, first 2 shown]
	v_pk_add_f16 v19, v19, v23 neg_lo:[0,1] neg_hi:[0,1]
	v_pk_add_f16 v42, v21, v25
	v_pk_add_f16 v20, v20, v24 neg_lo:[0,1] neg_hi:[0,1]
	v_pk_add_f16 v40, v17, v21
	v_pk_fma_f16 v14, v35, 0.5, v14 op_sel_hi:[1,0,1] neg_lo:[1,0,0] neg_hi:[1,0,0]
	v_pk_mul_f16 v18, 0x3aee, v18 op_sel_hi:[0,1]
	v_pk_fma_f16 v16, v38, 0.5, v16 op_sel_hi:[1,0,1] neg_lo:[1,0,0] neg_hi:[1,0,0]
	v_pk_add_f16 v21, v21, v25 neg_lo:[0,1] neg_hi:[0,1]
	v_pk_add_f16 v22, v30, v22
	v_pk_add_f16 v24, v34, v24
	v_pk_fma_f16 v15, v41, 0.5, v15 op_sel_hi:[1,0,1] neg_lo:[1,0,0] neg_hi:[1,0,0]
	v_pk_mul_f16 v19, 0x3aee, v19 op_sel_hi:[0,1]
	v_pk_fma_f16 v17, v42, 0.5, v17 op_sel_hi:[1,0,1] neg_lo:[1,0,0] neg_hi:[1,0,0]
	v_pk_add_f16 v23, v39, v23
	v_pk_add_f16 v25, v40, v25
	v_pk_add_f16 v34, v14, v18 op_sel:[0,1] op_sel_hi:[1,0]
	v_pk_add_f16 v14, v14, v18 op_sel:[0,1] op_sel_hi:[1,0] neg_lo:[0,1] neg_hi:[0,1]
	v_pk_fma_f16 v18, 0x3aee, v20, v16 op_sel:[0,0,1] op_sel_hi:[0,1,0]
	v_pk_fma_f16 v16, 0x3aee, v20, v16 op_sel:[0,0,1] op_sel_hi:[0,1,0] neg_lo:[0,1,0] neg_hi:[0,1,0]
	v_pk_add_f16 v30, v22, v24
	v_pk_add_f16 v20, v22, v24 neg_lo:[0,1] neg_hi:[0,1]
	v_pk_add_f16 v24, v15, v19 op_sel:[0,1] op_sel_hi:[1,0]
	v_pk_add_f16 v15, v15, v19 op_sel:[0,1] op_sel_hi:[1,0] neg_lo:[0,1] neg_hi:[0,1]
	v_pk_fma_f16 v19, 0x3aee, v21, v17 op_sel:[0,0,1] op_sel_hi:[0,1,0]
	v_pk_fma_f16 v17, 0x3aee, v21, v17 op_sel:[0,0,1] op_sel_hi:[0,1,0] neg_lo:[0,1,0] neg_hi:[0,1,0]
	v_pk_add_f16 v22, v23, v25
	v_pk_add_f16 v21, v23, v25 neg_lo:[0,1] neg_hi:[0,1]
	v_lshrrev_b32_e32 v25, 16, v18
	v_bfi_b32 v18, 0xffff, v18, v16
	v_mul_f16_e32 v35, 0x3aee, v16
	v_lshrrev_b32_e32 v39, 16, v19
	v_mul_f16_e32 v40, 0x3aee, v17
	v_bfi_b32 v19, 0xffff, v19, v17
	v_pk_mul_f16 v41, v18, 0.5 op_sel_hi:[1,0]
	v_fmac_f16_e32 v35, 0.5, v25
	v_mul_f16_e32 v25, 0xbaee, v25
	v_fmac_f16_e32 v40, 0.5, v39
	v_mul_f16_e32 v39, 0xbaee, v39
	v_pk_mul_f16 v42, v19, 0.5 op_sel_hi:[1,0]
	v_bfi_b32 v23, 0xffff, v14, v34
	v_fmac_f16_e32 v25, 0.5, v16
	v_pk_fma_f16 v16, 0xbaee3aee, v18, v41 op_sel:[0,0,1] op_sel_hi:[1,1,0] neg_lo:[0,0,1] neg_hi:[0,0,1]
	v_fmac_f16_e32 v39, 0.5, v17
	v_pk_fma_f16 v17, 0xbaee3aee, v19, v42 op_sel:[0,0,1] op_sel_hi:[1,1,0] neg_lo:[0,0,1] neg_hi:[0,0,1]
	v_add_f16_e32 v43, v34, v35
	v_sub_f16_e32 v18, v34, v35
	v_pk_add_f16 v23, v23, v16
	v_sub_f16_sdwa v34, v34, v16 dst_sel:DWORD dst_unused:UNUSED_PAD src0_sel:WORD_1 src1_sel:WORD_1
	v_pack_b32_f16 v16, v25, v16
	v_bfi_b32 v38, 0xffff, v15, v24
	v_add_f16_e32 v35, v24, v40
	v_sub_f16_e32 v19, v24, v40
	v_add_f16_sdwa v40, v14, v25 dst_sel:DWORD dst_unused:UNUSED_PAD src0_sel:WORD_1 src1_sel:DWORD
	v_add_f16_sdwa v25, v15, v39 dst_sel:DWORD dst_unused:UNUSED_PAD src0_sel:WORD_1 src1_sel:DWORD
	v_pack_b32_f16 v39, v39, v17
	v_pk_add_f16 v14, v14, v16 op_sel:[1,0] op_sel_hi:[0,1] neg_lo:[0,1] neg_hi:[0,1]
	v_pk_add_f16 v38, v38, v17
	v_sub_f16_sdwa v17, v24, v17 dst_sel:DWORD dst_unused:UNUSED_PAD src0_sel:WORD_1 src1_sel:WORD_1
	v_pack_b32_f16 v16, v43, v40
	v_pk_add_f16 v15, v15, v39 op_sel:[1,0] op_sel_hi:[0,1] neg_lo:[0,1] neg_hi:[0,1]
	ds_write2_b32 v27, v23, v20 offset0:2 offset1:3
	v_pack_b32_f16 v20, v35, v25
	v_alignbit_b32 v23, v34, v14, 16
	v_pack_b32_f16 v14, v18, v14
	v_alignbit_b32 v17, v17, v15, 16
	v_pack_b32_f16 v15, v19, v15
	ds_write2_b32 v32, v38, v21 offset1:1
	ds_write2_b32 v27, v30, v16 offset1:1
	;; [unrolled: 1-line block ×3, first 2 shown]
	ds_write2_b32 v27, v14, v23 offset0:4 offset1:5
	ds_write2_b32 v33, v15, v17 offset1:1
	s_waitcnt lgkmcnt(0)
	s_barrier
	buffer_gl0_inv
	global_load_dwordx4 v[18:21], v29, s[12:13]
	v_mul_u32_u24_sdwa v14, v37, v28 dst_sel:DWORD dst_unused:UNUSED_PAD src0_sel:WORD_0 src1_sel:DWORD
	v_mov_b32_e32 v17, 0xe38f
	v_add_nc_u32_e32 v15, 0x2d9, v3
	v_mul_lo_u16 v28, v7, 57
	v_mov_b32_e32 v27, 0x90
	v_lshlrev_b32_e32 v14, 2, v14
	s_clause 0x2
	global_load_dwordx4 v[22:25], v14, s[12:13]
	global_load_dword v38, v29, s[12:13] offset:16
	global_load_dword v39, v14, s[12:13] offset:16
	v_add_nc_u32_e32 v14, 0x1e6, v3
	v_mul_u32_u24_sdwa v29, v13, v17 dst_sel:DWORD dst_unused:UNUSED_PAD src0_sel:WORD_0 src1_sel:DWORD
	v_mul_u32_u24_sdwa v31, v15, v17 dst_sel:DWORD dst_unused:UNUSED_PAD src0_sel:WORD_0 src1_sel:DWORD
	v_lshrrev_b16 v40, 11, v28
	v_mov_b32_e32 v16, 2
	v_mul_u32_u24_sdwa v30, v14, v17 dst_sel:DWORD dst_unused:UNUSED_PAD src0_sel:WORD_0 src1_sel:DWORD
	v_lshrrev_b32_e32 v41, 21, v29
	v_lshrrev_b32_e32 v43, 21, v31
	v_mul_u32_u24_sdwa v44, v26, v27 dst_sel:DWORD dst_unused:UNUSED_PAD src0_sel:WORD_0 src1_sel:DWORD
	ds_read2_b32 v[26:27], v0 offset1:243
	v_lshrrev_b32_e32 v42, 21, v30
	v_mul_lo_u16 v34, v40, 36
	ds_read2_b32 v[28:29], v4 offset0:6 offset1:249
	ds_read2_b32 v[30:31], v9 offset0:12 offset1:255
	;; [unrolled: 1-line block ×3, first 2 shown]
	v_mul_u32_u24_e32 v8, 0x90, v8
	v_lshlrev_b32_sdwa v36, v16, v36 dst_sel:DWORD dst_unused:UNUSED_PAD src0_sel:DWORD src1_sel:BYTE_0
	v_lshlrev_b32_sdwa v37, v16, v37 dst_sel:DWORD dst_unused:UNUSED_PAD src0_sel:DWORD src1_sel:WORD_0
	v_sub_nc_u16 v46, v3, v34
	ds_read2_b32 v[34:35], v11 offset0:8 offset1:251
	v_mul_lo_u16 v45, v41, 36
	v_add3_u32 v44, 0, v44, v36
	v_add3_u32 v8, 0, v8, v37
	ds_read2_b32 v[36:37], v12 offset0:6 offset1:249
	v_mov_b32_e32 v17, 3
	v_mul_lo_u16 v47, v42, 36
	v_sub_nc_u16 v45, v13, v45
	s_waitcnt vmcnt(0) lgkmcnt(0)
	s_barrier
	v_lshlrev_b32_sdwa v48, v17, v46 dst_sel:DWORD dst_unused:UNUSED_PAD src0_sel:DWORD src1_sel:BYTE_0
	buffer_gl0_inv
	v_lshrrev_b32_e32 v49, 16, v26
	v_lshrrev_b32_e32 v54, 16, v28
	;; [unrolled: 1-line block ×9, first 2 shown]
	v_mul_lo_u16 v7, v7, 19
	v_lshlrev_b32_sdwa v46, v16, v46 dst_sel:DWORD dst_unused:UNUSED_PAD src0_sel:DWORD src1_sel:BYTE_0
	v_mul_u32_u24_e32 v42, 0x1b0, v42
	v_mul_u32_u24_e32 v41, 0x1b0, v41
	v_mul_f16_sdwa v58, v18, v28 dst_sel:DWORD dst_unused:UNUSED_PAD src0_sel:WORD_1 src1_sel:DWORD
	v_mul_f16_sdwa v60, v19, v30 dst_sel:DWORD dst_unused:UNUSED_PAD src0_sel:WORD_1 src1_sel:DWORD
	;; [unrolled: 1-line block ×5, first 2 shown]
	v_fmac_f16_e32 v58, v18, v54
	v_mul_f16_sdwa v54, v21, v34 dst_sel:DWORD dst_unused:UNUSED_PAD src0_sel:WORD_1 src1_sel:DWORD
	v_fmac_f16_e32 v60, v19, v55
	v_mul_f16_sdwa v55, v20, v56 dst_sel:DWORD dst_unused:UNUSED_PAD src0_sel:WORD_1 src1_sel:DWORD
	;; [unrolled: 2-line block ×3, first 2 shown]
	v_fmac_f16_e32 v54, v21, v57
	v_mul_f16_sdwa v57, v51, v22 dst_sel:DWORD dst_unused:UNUSED_PAD src0_sel:DWORD src1_sel:WORD_1
	v_fma_f16 v19, v19, v30, -v61
	v_fma_f16 v20, v20, v32, -v55
	v_lshrrev_b32_e32 v30, 16, v36
	v_mul_f16_sdwa v32, v52, v23 dst_sel:DWORD dst_unused:UNUSED_PAD src0_sel:DWORD src1_sel:WORD_1
	v_fma_f16 v18, v18, v28, -v59
	v_fma_f16 v21, v21, v34, -v56
	v_lshrrev_b32_e32 v28, 16, v35
	v_mul_f16_sdwa v34, v29, v22 dst_sel:DWORD dst_unused:UNUSED_PAD src0_sel:DWORD src1_sel:WORD_1
	v_fma_f16 v29, v29, v22, -v57
	v_mul_f16_sdwa v55, v53, v24 dst_sel:DWORD dst_unused:UNUSED_PAD src0_sel:DWORD src1_sel:WORD_1
	v_mul_f16_sdwa v56, v38, v36 dst_sel:DWORD dst_unused:UNUSED_PAD src0_sel:WORD_1 src1_sel:DWORD
	v_fma_f16 v32, v31, v23, -v32
	v_mul_f16_sdwa v31, v31, v23 dst_sel:DWORD dst_unused:UNUSED_PAD src0_sel:DWORD src1_sel:WORD_1
	v_mul_f16_sdwa v57, v38, v30 dst_sel:DWORD dst_unused:UNUSED_PAD src0_sel:WORD_1 src1_sel:DWORD
	v_lshrrev_b32_e32 v59, 16, v37
	v_fma_f16 v55, v33, v24, -v55
	v_mul_f16_sdwa v33, v33, v24 dst_sel:DWORD dst_unused:UNUSED_PAD src0_sel:DWORD src1_sel:WORD_1
	v_fmac_f16_e32 v56, v38, v30
	v_mul_f16_sdwa v30, v28, v25 dst_sel:DWORD dst_unused:UNUSED_PAD src0_sel:DWORD src1_sel:WORD_1
	v_fma_f16 v36, v38, v36, -v57
	v_mul_f16_sdwa v38, v35, v25 dst_sel:DWORD dst_unused:UNUSED_PAD src0_sel:DWORD src1_sel:WORD_1
	v_fmac_f16_e32 v34, v51, v22
	v_mul_f16_sdwa v22, v59, v39 dst_sel:DWORD dst_unused:UNUSED_PAD src0_sel:DWORD src1_sel:WORD_1
	v_fmac_f16_e32 v31, v52, v23
	;; [unrolled: 2-line block ×3, first 2 shown]
	v_fma_f16 v24, v35, v25, -v30
	v_fmac_f16_e32 v38, v28, v25
	v_fma_f16 v22, v37, v39, -v22
	v_fmac_f16_e32 v23, v59, v39
	v_add_f16_e32 v35, v49, v60
	v_add_f16_e32 v37, v60, v54
	;; [unrolled: 1-line block ×7, first 2 shown]
	v_sub_f16_e32 v30, v60, v54
	v_sub_f16_e32 v52, v62, v56
	v_add_f16_e32 v53, v58, v62
	v_sub_f16_e32 v20, v20, v36
	v_sub_f16_e32 v61, v31, v38
	v_add_f16_e32 v62, v50, v31
	v_add_f16_e32 v31, v31, v38
	v_add_f16_e32 v35, v35, v54
	v_add_f16_e32 v54, v55, v22
	v_fmac_f16_e32 v49, -0.5, v37
	v_sub_f16_e32 v37, v33, v23
	v_add_f16_e32 v36, v39, v36
	v_add_f16_e32 v39, v34, v33
	;; [unrolled: 1-line block ×3, first 2 shown]
	v_sub_f16_e32 v19, v19, v21
	v_add_f16_e32 v59, v27, v32
	v_add_f16_e32 v21, v25, v21
	;; [unrolled: 1-line block ×3, first 2 shown]
	v_fma_f16 v26, -0.5, v28, v26
	v_fmac_f16_e32 v18, -0.5, v51
	v_fmac_f16_e32 v58, -0.5, v57
	v_add_f16_e32 v60, v32, v24
	v_sub_f16_e32 v32, v32, v24
	v_sub_f16_e32 v55, v55, v22
	v_fmac_f16_e32 v50, -0.5, v31
	v_fmac_f16_e32 v29, -0.5, v54
	;; [unrolled: 1-line block ×3, first 2 shown]
	v_add_f16_e32 v24, v59, v24
	v_add_f16_e32 v22, v25, v22
	v_fmamk_f16 v25, v30, 0x3aee, v26
	v_fmac_f16_e32 v26, 0xbaee, v30
	v_fmamk_f16 v30, v19, 0xbaee, v49
	v_fmac_f16_e32 v49, 0x3aee, v19
	v_fmamk_f16 v19, v52, 0x3aee, v18
	v_fmamk_f16 v31, v20, 0xbaee, v58
	v_add_f16_e32 v38, v62, v38
	v_add_f16_e32 v23, v39, v23
	v_fmac_f16_e32 v18, 0xbaee, v52
	v_fmac_f16_e32 v58, 0x3aee, v20
	v_add_f16_e32 v20, v21, v36
	v_sub_f16_e32 v21, v21, v36
	v_fmamk_f16 v36, v32, 0xbaee, v50
	v_fmac_f16_e32 v50, 0x3aee, v32
	v_fmamk_f16 v32, v37, 0x3aee, v29
	v_fmac_f16_e32 v29, 0xbaee, v37
	;; [unrolled: 2-line block ×3, first 2 shown]
	v_add_f16_e32 v39, v24, v22
	v_sub_f16_e32 v22, v24, v22
	v_mul_f16_e32 v24, 0x3aee, v31
	v_mul_f16_e32 v52, 0xbaee, v19
	v_add_f16_e32 v28, v53, v56
	v_add_f16_e32 v51, v38, v23
	v_sub_f16_e32 v23, v38, v23
	v_mul_f16_e32 v38, -0.5, v18
	v_mul_f16_e32 v53, -0.5, v58
	v_fmac_f16_e32 v27, -0.5, v60
	v_mul_f16_e32 v54, 0x3aee, v37
	v_mul_f16_e32 v56, 0xbaee, v32
	v_mul_f16_e32 v55, -0.5, v29
	v_mul_f16_e32 v57, -0.5, v34
	v_fmac_f16_e32 v24, 0.5, v19
	v_fmac_f16_e32 v52, 0.5, v31
	v_fmac_f16_e32 v38, 0x3aee, v58
	v_fmac_f16_e32 v53, 0xbaee, v18
	v_add_f16_e32 v33, v35, v28
	v_sub_f16_e32 v28, v35, v28
	v_fmamk_f16 v35, v61, 0x3aee, v27
	v_fmac_f16_e32 v54, 0.5, v32
	v_fmac_f16_e32 v56, 0.5, v37
	v_fmac_f16_e32 v27, 0xbaee, v61
	v_fmac_f16_e32 v55, 0x3aee, v34
	;; [unrolled: 1-line block ×3, first 2 shown]
	v_pack_b32_f16 v22, v22, v23
	v_add_f16_e32 v18, v25, v24
	v_add_f16_e32 v23, v30, v52
	;; [unrolled: 1-line block ×4, first 2 shown]
	v_sub_f16_e32 v24, v25, v24
	v_sub_f16_e32 v25, v26, v38
	;; [unrolled: 1-line block ×4, first 2 shown]
	v_pack_b32_f16 v20, v20, v33
	v_add_f16_e32 v31, v35, v54
	v_add_f16_e32 v33, v36, v56
	;; [unrolled: 1-line block ×4, first 2 shown]
	v_sub_f16_e32 v35, v35, v54
	v_sub_f16_e32 v27, v27, v55
	;; [unrolled: 1-line block ×4, first 2 shown]
	v_pack_b32_f16 v18, v18, v23
	v_pack_b32_f16 v21, v21, v28
	;; [unrolled: 1-line block ×10, first 2 shown]
	ds_write2_b32 v44, v20, v18 offset1:6
	ds_write2_b32 v44, v19, v21 offset0:12 offset1:18
	ds_write2_b32 v44, v23, v24 offset0:24 offset1:30
	ds_write2_b32 v8, v28, v25 offset1:6
	ds_write2_b32 v8, v26, v22 offset0:12 offset1:18
	ds_write2_b32 v8, v29, v27 offset0:24 offset1:30
	v_lshlrev_b32_sdwa v8, v17, v45 dst_sel:DWORD dst_unused:UNUSED_PAD src0_sel:DWORD src1_sel:WORD_0
	v_sub_nc_u16 v36, v14, v47
	v_mul_lo_u16 v22, v43, 36
	s_waitcnt lgkmcnt(0)
	s_barrier
	buffer_gl0_inv
	s_clause 0x1
	global_load_dwordx2 v[18:19], v48, s[12:13] offset:120
	global_load_dwordx2 v[20:21], v8, s[12:13] offset:120
	v_lshlrev_b32_sdwa v8, v17, v36 dst_sel:DWORD dst_unused:UNUSED_PAD src0_sel:DWORD src1_sel:WORD_0
	v_sub_nc_u16 v37, v15, v22
	v_lshrrev_b16 v26, 2, v13
	v_lshrrev_b16 v27, 2, v14
	;; [unrolled: 1-line block ×3, first 2 shown]
	global_load_dwordx2 v[22:23], v8, s[12:13] offset:120
	v_lshlrev_b32_sdwa v8, v17, v37 dst_sel:DWORD dst_unused:UNUSED_PAD src0_sel:DWORD src1_sel:WORD_0
	v_lshrrev_b16 v38, 11, v7
	v_mov_b32_e32 v29, 0x1b0
	v_lshlrev_b32_sdwa v36, v16, v36 dst_sel:DWORD dst_unused:UNUSED_PAD src0_sel:DWORD src1_sel:WORD_0
	v_lshlrev_b32_sdwa v45, v16, v45 dst_sel:DWORD dst_unused:UNUSED_PAD src0_sel:DWORD src1_sel:WORD_0
	global_load_dwordx2 v[24:25], v8, s[12:13] offset:120
	v_mov_b32_e32 v8, 0x4bdb
	v_mul_u32_u24_sdwa v40, v40, v29 dst_sel:DWORD dst_unused:UNUSED_PAD src0_sel:WORD_0 src1_sel:DWORD
	v_add3_u32 v36, 0, v42, v36
	v_mul_u32_u24_e32 v43, 0x1b0, v43
	v_lshlrev_b32_sdwa v37, v16, v37 dst_sel:DWORD dst_unused:UNUSED_PAD src0_sel:DWORD src1_sel:WORD_0
	v_mul_u32_u24_sdwa v7, v26, v8 dst_sel:DWORD dst_unused:UNUSED_PAD src0_sel:WORD_0 src1_sel:DWORD
	v_mul_u32_u24_sdwa v26, v27, v8 dst_sel:DWORD dst_unused:UNUSED_PAD src0_sel:WORD_0 src1_sel:DWORD
	;; [unrolled: 1-line block ×3, first 2 shown]
	v_mul_lo_u16 v8, 0x6c, v38
	v_add3_u32 v40, 0, v40, v46
	v_lshrrev_b32_e32 v44, 19, v7
	v_lshrrev_b32_e32 v47, 19, v26
	v_add3_u32 v41, 0, v41, v45
	v_sub_nc_u16 v48, v3, v8
	ds_read2_b32 v[7:8], v0 offset1:243
	ds_read2_b32 v[26:27], v4 offset0:6 offset1:249
	ds_read2_b32 v[28:29], v12 offset0:6 offset1:249
	;; [unrolled: 1-line block ×5, first 2 shown]
	v_add3_u32 v37, 0, v43, v37
	v_mul_lo_u16 v49, 0x6c, v44
	v_lshlrev_b32_sdwa v50, v17, v48 dst_sel:DWORD dst_unused:UNUSED_PAD src0_sel:DWORD src1_sel:BYTE_0
	s_waitcnt vmcnt(0) lgkmcnt(0)
	s_barrier
	buffer_gl0_inv
	v_sub_nc_u16 v49, v13, v49
	v_mul_u32_u24_e32 v44, 0x510, v44
	v_lshrrev_b32_e32 v42, 16, v7
	v_lshrrev_b32_e32 v46, 16, v28
	;; [unrolled: 1-line block ×12, first 2 shown]
	v_mul_f16_sdwa v58, v18, v32 dst_sel:DWORD dst_unused:UNUSED_PAD src0_sel:WORD_1 src1_sel:DWORD
	v_mul_f16_sdwa v61, v18, v54 dst_sel:DWORD dst_unused:UNUSED_PAD src0_sel:WORD_1 src1_sel:DWORD
	v_mul_f16_sdwa v60, v19, v34 dst_sel:DWORD dst_unused:UNUSED_PAD src0_sel:WORD_1 src1_sel:DWORD
	v_mul_f16_sdwa v62, v19, v55 dst_sel:DWORD dst_unused:UNUSED_PAD src0_sel:WORD_1 src1_sel:DWORD
	v_fmac_f16_e32 v58, v18, v54
	v_mul_f16_sdwa v54, v20, v56 dst_sel:DWORD dst_unused:UNUSED_PAD src0_sel:WORD_1 src1_sel:DWORD
	v_fma_f16 v18, v18, v32, -v61
	v_mul_f16_sdwa v32, v21, v57 dst_sel:DWORD dst_unused:UNUSED_PAD src0_sel:WORD_1 src1_sel:DWORD
	v_fmac_f16_e32 v60, v19, v55
	v_mul_f16_sdwa v55, v20, v33 dst_sel:DWORD dst_unused:UNUSED_PAD src0_sel:WORD_1 src1_sel:DWORD
	v_fma_f16 v19, v19, v34, -v62
	v_mul_f16_sdwa v34, v21, v35 dst_sel:DWORD dst_unused:UNUSED_PAD src0_sel:WORD_1 src1_sel:DWORD
	v_fma_f16 v33, v20, v33, -v54
	v_mul_f16_sdwa v54, v22, v59 dst_sel:DWORD dst_unused:UNUSED_PAD src0_sel:WORD_1 src1_sel:DWORD
	v_mul_f16_sdwa v61, v22, v30 dst_sel:DWORD dst_unused:UNUSED_PAD src0_sel:WORD_1 src1_sel:DWORD
	v_fma_f16 v32, v21, v35, -v32
	v_mul_f16_sdwa v35, v46, v23 dst_sel:DWORD dst_unused:UNUSED_PAD src0_sel:DWORD src1_sel:WORD_1
	v_mul_f16_sdwa v62, v28, v23 dst_sel:DWORD dst_unused:UNUSED_PAD src0_sel:DWORD src1_sel:WORD_1
	v_fmac_f16_e32 v55, v20, v56
	v_mul_f16_sdwa v20, v52, v24 dst_sel:DWORD dst_unused:UNUSED_PAD src0_sel:DWORD src1_sel:WORD_1
	v_fmac_f16_e32 v34, v21, v57
	v_mul_f16_sdwa v21, v31, v24 dst_sel:DWORD dst_unused:UNUSED_PAD src0_sel:DWORD src1_sel:WORD_1
	v_mul_f16_sdwa v56, v53, v25 dst_sel:DWORD dst_unused:UNUSED_PAD src0_sel:DWORD src1_sel:WORD_1
	;; [unrolled: 1-line block ×3, first 2 shown]
	v_fma_f16 v30, v22, v30, -v54
	v_fmac_f16_e32 v61, v22, v59
	v_fma_f16 v22, v28, v23, -v35
	v_fmac_f16_e32 v62, v46, v23
	;; [unrolled: 2-line block ×4, first 2 shown]
	v_add_f16_e32 v25, v18, v19
	v_add_f16_e32 v29, v42, v58
	;; [unrolled: 1-line block ×7, first 2 shown]
	v_sub_f16_e32 v28, v58, v60
	v_add_f16_e32 v56, v30, v22
	v_sub_f16_e32 v58, v61, v62
	v_add_f16_e32 v59, v45, v61
	v_add_f16_e32 v61, v61, v62
	v_sub_f16_e32 v18, v18, v19
	v_sub_f16_e32 v33, v33, v32
	v_add_f16_e32 v29, v29, v60
	v_add_f16_e32 v60, v20, v23
	v_fmac_f16_e32 v42, -0.5, v31
	v_sub_f16_e32 v31, v21, v57
	v_add_f16_e32 v32, v35, v32
	v_add_f16_e32 v35, v51, v21
	;; [unrolled: 1-line block ×3, first 2 shown]
	v_fma_f16 v7, -0.5, v25, v7
	v_sub_f16_e32 v52, v55, v34
	v_add_f16_e32 v53, v43, v55
	v_add_f16_e32 v19, v24, v19
	;; [unrolled: 1-line block ×3, first 2 shown]
	v_fmac_f16_e32 v8, -0.5, v46
	v_fmac_f16_e32 v43, -0.5, v54
	v_add_f16_e32 v55, v26, v30
	v_sub_f16_e32 v30, v30, v22
	v_fma_f16 v26, -0.5, v56, v26
	v_fmac_f16_e32 v45, -0.5, v61
	v_sub_f16_e32 v20, v20, v23
	v_fmac_f16_e32 v27, -0.5, v60
	v_fmac_f16_e32 v51, -0.5, v21
	v_fmamk_f16 v21, v28, 0x3aee, v7
	v_fmac_f16_e32 v7, 0xbaee, v28
	v_fmamk_f16 v28, v18, 0xbaee, v42
	v_fmac_f16_e32 v42, 0x3aee, v18
	v_add_f16_e32 v25, v53, v34
	v_add_f16_e32 v23, v24, v23
	;; [unrolled: 1-line block ×3, first 2 shown]
	v_fmamk_f16 v18, v52, 0x3aee, v8
	v_fmamk_f16 v35, v33, 0xbaee, v43
	v_fmac_f16_e32 v8, 0xbaee, v52
	v_fmac_f16_e32 v43, 0x3aee, v33
	v_add_f16_e32 v22, v55, v22
	v_add_f16_e32 v34, v59, v62
	v_fmamk_f16 v33, v58, 0x3aee, v26
	v_fmamk_f16 v46, v30, 0xbaee, v45
	v_fmac_f16_e32 v26, 0xbaee, v58
	v_fmac_f16_e32 v45, 0x3aee, v30
	v_fmamk_f16 v30, v31, 0x3aee, v27
	v_fmac_f16_e32 v27, 0xbaee, v31
	v_fmamk_f16 v31, v20, 0xbaee, v51
	v_fmac_f16_e32 v51, 0x3aee, v20
	v_pack_b32_f16 v19, v19, v29
	v_pack_b32_f16 v21, v21, v28
	;; [unrolled: 1-line block ×12, first 2 shown]
	ds_write2_b32 v40, v19, v21 offset1:36
	ds_write_b32 v40, v7 offset:288
	ds_write2_b32 v41, v20, v18 offset1:36
	ds_write_b32 v41, v8 offset:288
	;; [unrolled: 2-line block ×4, first 2 shown]
	s_waitcnt lgkmcnt(0)
	s_barrier
	buffer_gl0_inv
	global_load_dwordx2 v[18:19], v50, s[12:13] offset:408
	v_lshrrev_b32_e32 v30, 19, v39
	v_mul_lo_u16 v7, 0x6c, v47
	v_lshlrev_b32_sdwa v8, v17, v49 dst_sel:DWORD dst_unused:UNUSED_PAD src0_sel:DWORD src1_sel:WORD_0
	v_add_nc_u32_e32 v26, 0xffffffaf, v3
	v_mov_b32_e32 v27, 0x6523
	v_mul_lo_u16 v22, 0x6c, v30
	v_sub_nc_u16 v39, v14, v7
	global_load_dwordx2 v[20:21], v8, s[12:13] offset:408
	v_cndmask_b32_e64 v43, v26, v13, s0
	v_mul_u32_u24_sdwa v28, v14, v27 dst_sel:DWORD dst_unused:UNUSED_PAD src0_sel:WORD_0 src1_sel:DWORD
	v_sub_nc_u16 v42, v15, v22
	v_lshlrev_b32_sdwa v7, v17, v39 dst_sel:DWORD dst_unused:UNUSED_PAD src0_sel:DWORD src1_sel:WORD_0
	v_mul_u32_u24_sdwa v29, v15, v27 dst_sel:DWORD dst_unused:UNUSED_PAD src0_sel:WORD_0 src1_sel:DWORD
	v_mov_b32_e32 v31, 0x510
	v_lshrrev_b32_e32 v45, 23, v28
	v_mul_u32_u24_e32 v51, 0x510, v30
	global_load_dwordx2 v[22:23], v7, s[12:13] offset:408
	v_lshlrev_b32_sdwa v7, v17, v42 dst_sel:DWORD dst_unused:UNUSED_PAD src0_sel:DWORD src1_sel:WORD_0
	v_mov_b32_e32 v8, 0
	v_lshrrev_b32_e32 v32, 23, v29
	v_mul_u32_u24_sdwa v46, v38, v31 dst_sel:DWORD dst_unused:UNUSED_PAD src0_sel:WORD_0 src1_sel:DWORD
	ds_read2_b32 v[30:31], v0 offset1:243
	global_load_dwordx2 v[24:25], v7, s[12:13] offset:408
	v_lshlrev_b32_e32 v7, 1, v3
	v_mul_lo_u16 v50, 0x144, v32
	ds_read2_b32 v[32:33], v4 offset0:6 offset1:249
	ds_read2_b32 v[34:35], v12 offset0:6 offset1:249
	;; [unrolled: 1-line block ×3, first 2 shown]
	v_lshlrev_b32_sdwa v42, v16, v42 dst_sel:DWORD dst_unused:UNUSED_PAD src0_sel:DWORD src1_sel:WORD_0
	v_mul_u32_u24_e32 v47, 0x510, v47
	v_lshlrev_b64 v[26:27], 2, v[7:8]
	v_lshlrev_b32_e32 v7, 1, v43
	v_add3_u32 v42, 0, v51, v42
	v_lshlrev_b64 v[28:29], 2, v[7:8]
	v_mul_lo_u16 v7, 0x144, v45
	v_add_co_u32 v26, s0, s12, v26
	v_add_co_ci_u32_e64 v27, s0, s13, v27, s0
	v_sub_nc_u16 v52, v14, v7
	v_lshlrev_b32_sdwa v7, v16, v48 dst_sel:DWORD dst_unused:UNUSED_PAD src0_sel:DWORD src1_sel:BYTE_0
	v_lshlrev_b32_sdwa v48, v16, v49 dst_sel:DWORD dst_unused:UNUSED_PAD src0_sel:DWORD src1_sel:WORD_0
	v_lshlrev_b32_sdwa v49, v16, v39 dst_sel:DWORD dst_unused:UNUSED_PAD src0_sel:DWORD src1_sel:WORD_0
	ds_read2_b32 v[38:39], v9 offset0:12 offset1:255
	ds_read2_b32 v[40:41], v11 offset0:8 offset1:251
	s_waitcnt lgkmcnt(3)
	v_lshrrev_b32_e32 v51, 16, v34
	s_waitcnt lgkmcnt(2)
	v_lshrrev_b32_e32 v53, 16, v37
	v_lshrrev_b32_e32 v54, 16, v35
	v_add3_u32 v7, 0, v46, v7
	v_add3_u32 v46, 0, v47, v49
	v_lshrrev_b32_e32 v47, 16, v30
	v_add3_u32 v44, 0, v44, v48
	v_lshrrev_b32_e32 v48, 16, v31
	v_lshrrev_b32_e32 v49, 16, v32
	s_waitcnt vmcnt(0) lgkmcnt(0)
	s_barrier
	buffer_gl0_inv
	v_add_co_u32 v28, s0, s12, v28
	v_add_co_ci_u32_e64 v29, s0, s13, v29, s0
	v_lshlrev_b32_sdwa v17, v17, v52 dst_sel:DWORD dst_unused:UNUSED_PAD src0_sel:DWORD src1_sel:WORD_0
	v_cmp_lt_u32_e64 s0, 0x50, v3
	v_lshrrev_b32_e32 v55, 16, v38
	v_lshrrev_b32_e32 v56, 16, v40
	;; [unrolled: 1-line block ×3, first 2 shown]
	v_mul_f16_sdwa v57, v18, v38 dst_sel:DWORD dst_unused:UNUSED_PAD src0_sel:WORD_1 src1_sel:DWORD
	v_mul_f16_sdwa v59, v19, v40 dst_sel:DWORD dst_unused:UNUSED_PAD src0_sel:WORD_1 src1_sel:DWORD
	;; [unrolled: 1-line block ×4, first 2 shown]
	v_fmac_f16_e32 v57, v18, v55
	v_lshrrev_b32_e32 v55, 16, v41
	v_fmac_f16_e32 v59, v19, v56
	v_mul_f16_sdwa v56, v20, v58 dst_sel:DWORD dst_unused:UNUSED_PAD src0_sel:WORD_1 src1_sel:DWORD
	v_fma_f16 v18, v18, v38, -v60
	v_mul_f16_sdwa v60, v21, v41 dst_sel:DWORD dst_unused:UNUSED_PAD src0_sel:WORD_1 src1_sel:DWORD
	v_mul_f16_sdwa v38, v21, v55 dst_sel:DWORD dst_unused:UNUSED_PAD src0_sel:WORD_1 src1_sel:DWORD
	v_fma_f16 v19, v19, v40, -v61
	v_lshrrev_b32_e32 v40, 16, v36
	v_fma_f16 v56, v20, v39, -v56
	v_mul_f16_sdwa v39, v20, v39 dst_sel:DWORD dst_unused:UNUSED_PAD src0_sel:WORD_1 src1_sel:DWORD
	v_fma_f16 v38, v21, v41, -v38
	v_mul_f16_sdwa v61, v22, v36 dst_sel:DWORD dst_unused:UNUSED_PAD src0_sel:WORD_1 src1_sel:DWORD
	v_fmac_f16_e32 v60, v21, v55
	v_mul_f16_sdwa v21, v34, v23 dst_sel:DWORD dst_unused:UNUSED_PAD src0_sel:DWORD src1_sel:WORD_1
	v_mul_f16_sdwa v41, v22, v40 dst_sel:DWORD dst_unused:UNUSED_PAD src0_sel:WORD_1 src1_sel:DWORD
	v_fmac_f16_e32 v39, v20, v58
	v_mul_f16_sdwa v20, v51, v23 dst_sel:DWORD dst_unused:UNUSED_PAD src0_sel:DWORD src1_sel:WORD_1
	v_mul_f16_sdwa v55, v53, v24 dst_sel:DWORD dst_unused:UNUSED_PAD src0_sel:DWORD src1_sel:WORD_1
	;; [unrolled: 1-line block ×3, first 2 shown]
	v_fmac_f16_e32 v61, v22, v40
	v_mul_f16_sdwa v40, v54, v25 dst_sel:DWORD dst_unused:UNUSED_PAD src0_sel:DWORD src1_sel:WORD_1
	v_fmac_f16_e32 v21, v51, v23
	v_mul_f16_sdwa v51, v35, v25 dst_sel:DWORD dst_unused:UNUSED_PAD src0_sel:DWORD src1_sel:WORD_1
	v_fma_f16 v22, v22, v36, -v41
	v_fma_f16 v20, v34, v23, -v20
	;; [unrolled: 1-line block ×3, first 2 shown]
	v_fmac_f16_e32 v58, v53, v24
	v_fma_f16 v24, v35, v25, -v40
	v_fmac_f16_e32 v51, v54, v25
	v_add_f16_e32 v25, v30, v18
	v_add_f16_e32 v37, v47, v57
	;; [unrolled: 1-line block ×3, first 2 shown]
	v_lshrrev_b32_e32 v23, 16, v33
	v_add_f16_e32 v35, v18, v19
	v_add_f16_e32 v41, v31, v56
	;; [unrolled: 1-line block ×3, first 2 shown]
	v_sub_f16_e32 v54, v39, v60
	v_add_f16_e32 v55, v48, v39
	v_add_f16_e32 v39, v39, v60
	v_sub_f16_e32 v36, v57, v59
	v_sub_f16_e32 v18, v18, v19
	v_add_f16_e32 v19, v25, v19
	v_add_f16_e32 v25, v22, v20
	;; [unrolled: 1-line block ×3, first 2 shown]
	v_sub_f16_e32 v59, v61, v21
	v_fmac_f16_e32 v47, -0.5, v40
	v_add_f16_e32 v40, v49, v61
	v_add_f16_e32 v61, v61, v21
	v_sub_f16_e32 v56, v56, v38
	v_add_f16_e32 v57, v32, v22
	v_add_f16_e32 v38, v41, v38
	;; [unrolled: 1-line block ×3, first 2 shown]
	v_fmac_f16_e32 v31, -0.5, v53
	v_add_f16_e32 v53, v34, v24
	v_add_f16_e32 v55, v55, v60
	v_sub_f16_e32 v60, v58, v51
	v_fmac_f16_e32 v48, -0.5, v39
	v_add_f16_e32 v39, v23, v58
	v_add_f16_e32 v58, v58, v51
	v_fma_f16 v30, -0.5, v35, v30
	v_sub_f16_e32 v22, v22, v20
	v_fma_f16 v25, -0.5, v25, v32
	v_fmac_f16_e32 v49, -0.5, v61
	v_sub_f16_e32 v34, v34, v24
	v_add_f16_e32 v20, v57, v20
	v_add_f16_e32 v21, v40, v21
	;; [unrolled: 1-line block ×3, first 2 shown]
	v_fmac_f16_e32 v33, -0.5, v53
	v_add_f16_e32 v32, v39, v51
	v_fmac_f16_e32 v23, -0.5, v58
	v_fmamk_f16 v35, v36, 0x3aee, v30
	v_fmac_f16_e32 v30, 0xbaee, v36
	v_fmamk_f16 v36, v18, 0xbaee, v47
	v_fmac_f16_e32 v47, 0x3aee, v18
	v_fmamk_f16 v18, v54, 0x3aee, v31
	v_fmamk_f16 v39, v56, 0xbaee, v48
	v_fmac_f16_e32 v31, 0xbaee, v54
	v_fmac_f16_e32 v48, 0x3aee, v56
	v_fmamk_f16 v40, v59, 0x3aee, v25
	v_fmamk_f16 v41, v22, 0xbaee, v49
	v_fmac_f16_e32 v25, 0xbaee, v59
	v_fmac_f16_e32 v49, 0x3aee, v22
	v_fmamk_f16 v22, v60, 0x3aee, v33
	v_fmac_f16_e32 v33, 0xbaee, v60
	v_fmamk_f16 v51, v34, 0xbaee, v23
	v_fmac_f16_e32 v23, 0x3aee, v34
	v_pack_b32_f16 v19, v19, v37
	v_pack_b32_f16 v20, v20, v21
	;; [unrolled: 1-line block ×12, first 2 shown]
	ds_write2_b32 v7, v19, v24 offset1:108
	ds_write_b32 v7, v30 offset:864
	ds_write2_b32 v44, v34, v18 offset1:108
	ds_write_b32 v44, v31 offset:864
	;; [unrolled: 2-line block ×4, first 2 shown]
	v_sub_nc_u16 v7, v15, v50
	s_waitcnt lgkmcnt(0)
	s_barrier
	buffer_gl0_inv
	s_clause 0x1
	global_load_dwordx2 v[18:19], v[26:27], off offset:1272
	global_load_dwordx2 v[20:21], v[28:29], off offset:1272
	v_and_b32_e32 v30, 0xffff, v7
	global_load_dwordx2 v[22:23], v17, s[12:13] offset:1272
	v_lshlrev_b32_e32 v28, 2, v43
	v_mul_u32_u24_e32 v31, 0xf30, v45
	v_lshlrev_b32_e32 v7, 3, v30
	v_lshl_add_u32 v44, v30, 2, 0
	global_load_dwordx2 v[24:25], v7, s[12:13] offset:1272
	v_cndmask_b32_e64 v17, 0, 0xf30, s0
	v_lshlrev_b32_e32 v7, 1, v13
	v_add_co_u32 v13, s0, 0x800, v26
	v_lshlrev_b32_sdwa v26, v16, v52 dst_sel:DWORD dst_unused:UNUSED_PAD src0_sel:DWORD src1_sel:WORD_0
	v_add3_u32 v42, 0, v17, v28
	v_lshlrev_b64 v[28:29], 2, v[7:8]
	v_lshlrev_b32_e32 v7, 1, v14
	v_add_co_ci_u32_e64 v14, s0, 0, v27, s0
	v_add3_u32 v43, 0, v31, v26
	v_lshlrev_b64 v[16:17], 2, v[7:8]
	v_lshlrev_b32_e32 v7, 1, v15
	v_add_co_u32 v38, s0, s12, v28
	v_add_co_ci_u32_e64 v39, s0, s13, v29, s0
	v_lshlrev_b64 v[26:27], 2, v[7:8]
	ds_read2_b32 v[28:29], v0 offset1:243
	ds_read2_b32 v[30:31], v4 offset0:6 offset1:249
	ds_read2_b32 v[32:33], v10 offset0:2 offset1:245
	;; [unrolled: 1-line block ×3, first 2 shown]
	v_add_co_u32 v7, s0, s12, v16
	ds_read2_b32 v[15:16], v9 offset0:12 offset1:255
	ds_read2_b32 v[36:37], v11 offset0:8 offset1:251
	v_add_co_ci_u32_e64 v17, s0, s13, v17, s0
	v_add_co_u32 v38, s0, 0x800, v38
	v_add_co_ci_u32_e64 v39, s0, 0, v39, s0
	v_add_co_u32 v40, s0, 0x800, v7
	v_add_co_ci_u32_e64 v41, s0, 0, v17, s0
	s_waitcnt vmcnt(0) lgkmcnt(0)
	s_barrier
	buffer_gl0_inv
	v_lshrrev_b32_e32 v7, 16, v28
	v_lshrrev_b32_e32 v17, 16, v29
	;; [unrolled: 1-line block ×12, first 2 shown]
	v_mul_f16_sdwa v56, v18, v15 dst_sel:DWORD dst_unused:UNUSED_PAD src0_sel:WORD_1 src1_sel:DWORD
	v_mul_f16_sdwa v55, v18, v50 dst_sel:DWORD dst_unused:UNUSED_PAD src0_sel:WORD_1 src1_sel:DWORD
	;; [unrolled: 1-line block ×7, first 2 shown]
	v_fmac_f16_e32 v56, v18, v50
	v_mul_f16_sdwa v50, v21, v37 dst_sel:DWORD dst_unused:UNUSED_PAD src0_sel:WORD_1 src1_sel:DWORD
	v_fmac_f16_e32 v58, v19, v51
	v_mul_f16_sdwa v51, v22, v54 dst_sel:DWORD dst_unused:UNUSED_PAD src0_sel:WORD_1 src1_sel:DWORD
	v_fma_f16 v15, v18, v15, -v55
	v_fma_f16 v18, v19, v36, -v57
	v_mul_f16_sdwa v19, v22, v32 dst_sel:DWORD dst_unused:UNUSED_PAD src0_sel:WORD_1 src1_sel:DWORD
	v_mul_f16_sdwa v36, v46, v23 dst_sel:DWORD dst_unused:UNUSED_PAD src0_sel:DWORD src1_sel:WORD_1
	v_fma_f16 v16, v20, v16, -v59
	v_mul_f16_sdwa v55, v34, v23 dst_sel:DWORD dst_unused:UNUSED_PAD src0_sel:DWORD src1_sel:WORD_1
	v_mul_f16_sdwa v57, v48, v24 dst_sel:DWORD dst_unused:UNUSED_PAD src0_sel:DWORD src1_sel:WORD_1
	v_fma_f16 v37, v21, v37, -v61
	v_mul_f16_sdwa v59, v33, v24 dst_sel:DWORD dst_unused:UNUSED_PAD src0_sel:DWORD src1_sel:WORD_1
	v_mul_f16_sdwa v61, v49, v25 dst_sel:DWORD dst_unused:UNUSED_PAD src0_sel:DWORD src1_sel:WORD_1
	v_fmac_f16_e32 v60, v20, v52
	v_mul_f16_sdwa v20, v35, v25 dst_sel:DWORD dst_unused:UNUSED_PAD src0_sel:DWORD src1_sel:WORD_1
	v_fmac_f16_e32 v50, v21, v53
	v_fma_f16 v21, v22, v32, -v51
	v_fmac_f16_e32 v19, v22, v54
	v_fma_f16 v22, v34, v23, -v36
	;; [unrolled: 2-line block ×4, first 2 shown]
	v_fmac_f16_e32 v20, v49, v25
	v_add_f16_e32 v25, v28, v15
	v_add_f16_e32 v32, v15, v18
	;; [unrolled: 1-line block ×6, first 2 shown]
	v_sub_f16_e32 v33, v56, v58
	v_sub_f16_e32 v15, v15, v18
	;; [unrolled: 1-line block ×3, first 2 shown]
	v_add_f16_e32 v49, v17, v60
	v_add_f16_e32 v53, v21, v22
	v_sub_f16_e32 v54, v19, v55
	v_add_f16_e32 v56, v45, v19
	v_add_f16_e32 v19, v19, v55
	;; [unrolled: 1-line block ×4, first 2 shown]
	v_sub_f16_e32 v61, v59, v20
	v_add_f16_e32 v18, v25, v18
	v_add_f16_e32 v25, v47, v59
	;; [unrolled: 1-line block ×3, first 2 shown]
	v_fma_f16 v28, -0.5, v32, v28
	v_add_f16_e32 v32, v34, v58
	v_fmac_f16_e32 v7, -0.5, v35
	v_add_f16_e32 v36, v29, v16
	v_sub_f16_e32 v16, v16, v37
	v_fmac_f16_e32 v29, -0.5, v46
	v_fmac_f16_e32 v17, -0.5, v51
	v_add_f16_e32 v52, v30, v21
	v_sub_f16_e32 v21, v21, v22
	v_sub_f16_e32 v23, v23, v24
	v_fma_f16 v30, -0.5, v53, v30
	v_fmac_f16_e32 v45, -0.5, v19
	v_add_f16_e32 v19, v57, v24
	v_fmac_f16_e32 v31, -0.5, v60
	v_add_f16_e32 v20, v25, v20
	v_fmac_f16_e32 v47, -0.5, v59
	v_fmamk_f16 v24, v33, 0x3aee, v28
	v_fmamk_f16 v25, v15, 0xbaee, v7
	v_pack_b32_f16 v18, v18, v32
	v_fmac_f16_e32 v28, 0xbaee, v33
	v_fmac_f16_e32 v7, 0x3aee, v15
	v_add_f16_e32 v34, v36, v37
	v_add_f16_e32 v35, v49, v50
	v_fmamk_f16 v15, v48, 0x3aee, v29
	v_fmamk_f16 v33, v16, 0xbaee, v17
	v_fmac_f16_e32 v29, 0xbaee, v48
	v_fmac_f16_e32 v17, 0x3aee, v16
	v_add_f16_e32 v22, v52, v22
	v_add_f16_e32 v36, v56, v55
	v_fmamk_f16 v16, v54, 0x3aee, v30
	v_fmac_f16_e32 v30, 0xbaee, v54
	v_fmamk_f16 v37, v21, 0xbaee, v45
	v_fmac_f16_e32 v45, 0x3aee, v21
	;; [unrolled: 2-line block ×4, first 2 shown]
	ds_write_b32 v0, v18
	v_pack_b32_f16 v18, v24, v25
	v_pack_b32_f16 v7, v28, v7
	;; [unrolled: 1-line block ×11, first 2 shown]
	ds_write_b32 v0, v18 offset:1296
	ds_write_b32 v0, v7 offset:2592
	ds_write_b32 v42, v23
	ds_write_b32 v42, v15 offset:1296
	ds_write_b32 v42, v17 offset:2592
	ds_write_b32 v43, v22
	ds_write_b32 v43, v16 offset:1296
	ds_write_b32 v43, v20 offset:2592
	;; [unrolled: 1-line block ×5, first 2 shown]
	v_add_co_u32 v7, s0, s12, v26
	v_add_co_ci_u32_e64 v18, s0, s13, v27, s0
	s_waitcnt lgkmcnt(0)
	v_add_co_u32 v17, s0, 0x800, v7
	v_add_co_ci_u32_e64 v18, s0, 0, v18, s0
	s_barrier
	buffer_gl0_inv
	s_clause 0x3
	global_load_dwordx2 v[13:14], v[13:14], off offset:1816
	global_load_dwordx2 v[15:16], v[38:39], off offset:1816
	;; [unrolled: 1-line block ×4, first 2 shown]
	ds_read2_b32 v[21:22], v0 offset1:243
	ds_read2_b32 v[23:24], v4 offset0:6 offset1:249
	ds_read2_b32 v[25:26], v12 offset0:6 offset1:249
	;; [unrolled: 1-line block ×5, first 2 shown]
	s_waitcnt vmcnt(0) lgkmcnt(0)
	s_barrier
	buffer_gl0_inv
	v_lshrrev_b32_e32 v7, 16, v21
	v_lshrrev_b32_e32 v33, 16, v22
	;; [unrolled: 1-line block ×12, first 2 shown]
	v_mul_f16_sdwa v44, v13, v39 dst_sel:DWORD dst_unused:UNUSED_PAD src0_sel:WORD_1 src1_sel:DWORD
	v_mul_f16_sdwa v45, v13, v29 dst_sel:DWORD dst_unused:UNUSED_PAD src0_sel:WORD_1 src1_sel:DWORD
	;; [unrolled: 1-line block ×10, first 2 shown]
	v_mul_f16_sdwa v54, v35, v20 dst_sel:DWORD dst_unused:UNUSED_PAD src0_sel:DWORD src1_sel:WORD_1
	v_mul_f16_sdwa v55, v25, v20 dst_sel:DWORD dst_unused:UNUSED_PAD src0_sel:DWORD src1_sel:WORD_1
	;; [unrolled: 1-line block ×6, first 2 shown]
	v_fma_f16 v29, v13, v29, -v44
	v_fmac_f16_e32 v45, v13, v39
	v_fma_f16 v13, v14, v31, -v46
	v_fmac_f16_e32 v47, v14, v40
	v_fma_f16 v14, v15, v30, -v48
	v_fmac_f16_e32 v49, v15, v41
	v_fma_f16 v15, v16, v32, -v50
	v_fmac_f16_e32 v51, v16, v42
	v_fma_f16 v16, v19, v27, -v52
	v_fmac_f16_e32 v53, v19, v43
	v_fma_f16 v19, v25, v20, -v54
	v_fmac_f16_e32 v55, v35, v20
	v_fma_f16 v20, v28, v17, -v56
	v_fmac_f16_e32 v57, v37, v17
	v_fma_f16 v17, v26, v18, -v58
	v_fmac_f16_e32 v59, v38, v18
	v_add_f16_e32 v18, v21, v29
	v_add_f16_e32 v25, v29, v13
	;; [unrolled: 1-line block ×16, first 2 shown]
	v_sub_f16_e32 v26, v45, v47
	v_sub_f16_e32 v29, v29, v13
	;; [unrolled: 1-line block ×4, first 2 shown]
	v_add_f16_e32 v13, v18, v13
	v_fma_f16 v18, -0.5, v25, v21
	v_add_f16_e32 v21, v27, v47
	v_fmac_f16_e32 v7, -0.5, v28
	v_add_f16_e32 v15, v30, v15
	v_fmac_f16_e32 v22, -0.5, v31
	;; [unrolled: 2-line block ×3, first 2 shown]
	v_sub_f16_e32 v40, v53, v55
	v_sub_f16_e32 v16, v16, v19
	;; [unrolled: 1-line block ×4, first 2 shown]
	v_fma_f16 v23, -0.5, v39, v23
	v_fmac_f16_e32 v34, -0.5, v42
	v_fmac_f16_e32 v24, -0.5, v44
	;; [unrolled: 1-line block ×3, first 2 shown]
	v_add_f16_e32 v19, v38, v19
	v_add_f16_e32 v27, v41, v55
	;; [unrolled: 1-line block ×4, first 2 shown]
	v_fmamk_f16 v30, v26, 0x3aee, v18
	v_fmac_f16_e32 v18, 0xbaee, v26
	v_fmamk_f16 v26, v29, 0xbaee, v7
	v_fmac_f16_e32 v7, 0x3aee, v29
	v_fmamk_f16 v29, v32, 0x3aee, v22
	v_fmamk_f16 v31, v14, 0xbaee, v33
	v_pack_b32_f16 v13, v13, v21
	v_pack_b32_f16 v15, v15, v25
	v_fmac_f16_e32 v22, 0xbaee, v32
	v_fmac_f16_e32 v33, 0x3aee, v14
	v_fmamk_f16 v14, v40, 0x3aee, v23
	v_fmamk_f16 v32, v16, 0xbaee, v34
	v_fmac_f16_e32 v34, 0x3aee, v16
	v_fmamk_f16 v16, v45, 0x3aee, v24
	v_fmamk_f16 v35, v20, 0xbaee, v36
	v_fmac_f16_e32 v23, 0xbaee, v40
	v_fmac_f16_e32 v24, 0xbaee, v45
	;; [unrolled: 1-line block ×3, first 2 shown]
	v_pack_b32_f16 v19, v19, v27
	v_pack_b32_f16 v17, v17, v28
	;; [unrolled: 1-line block ×3, first 2 shown]
	ds_write2_b32 v0, v13, v15 offset1:243
	v_pack_b32_f16 v0, v29, v31
	v_pack_b32_f16 v7, v18, v7
	;; [unrolled: 1-line block ×7, first 2 shown]
	ds_write2_b32 v4, v19, v17 offset0:6 offset1:249
	ds_write2_b32 v9, v20, v0 offset0:12 offset1:255
	;; [unrolled: 1-line block ×5, first 2 shown]
	s_waitcnt lgkmcnt(0)
	s_barrier
	buffer_gl0_inv
	s_and_saveexec_b32 s0, vcc_lo
	s_cbranch_execz .LBB0_21
; %bb.20:
	v_mul_lo_u32 v0, s3, v5
	v_mul_lo_u32 v4, s2, v6
	v_mad_u64_u32 v[5:6], null, s2, v5, 0
	v_lshl_add_u32 v17, v3, 2, 0
	v_add_nc_u32_e32 v7, 0xf3, v3
	ds_read2_b32 v[9:10], v17 offset1:243
	v_add3_u32 v6, v6, v4, v0
	v_mov_b32_e32 v4, v8
	v_lshlrev_b64 v[0:1], 2, v[1:2]
	v_lshlrev_b64 v[13:14], 2, v[7:8]
	v_add_nc_u32_e32 v7, 0x1e6, v3
	v_lshlrev_b64 v[5:6], 2, v[5:6]
	v_lshlrev_b64 v[11:12], 2, v[3:4]
	v_add_co_u32 v2, vcc_lo, s10, v5
	v_add_co_ci_u32_e32 v4, vcc_lo, s11, v6, vcc_lo
	v_add_nc_u32_e32 v6, 0x16c0, v17
	v_add_co_u32 v19, vcc_lo, v2, v0
	v_add_co_ci_u32_e32 v20, vcc_lo, v4, v1, vcc_lo
	v_add_nc_u32_e32 v2, 0x780, v17
	v_add_co_u32 v0, vcc_lo, v19, v11
	v_add_co_ci_u32_e32 v1, vcc_lo, v20, v12, vcc_lo
	ds_read2_b32 v[11:12], v2 offset0:6 offset1:249
	v_add_co_u32 v4, vcc_lo, v19, v13
	v_add_co_ci_u32_e32 v5, vcc_lo, v20, v14, vcc_lo
	v_lshlrev_b64 v[13:14], 2, v[7:8]
	v_add_nc_u32_e32 v7, 0x2d9, v3
	s_waitcnt lgkmcnt(1)
	global_store_dword v[0:1], v9, off
	global_store_dword v[4:5], v10, off
	v_add_nc_u32_e32 v2, 0xf00, v17
	v_lshlrev_b64 v[0:1], 2, v[7:8]
	v_add_co_u32 v4, vcc_lo, v19, v13
	v_add_co_ci_u32_e32 v5, vcc_lo, v20, v14, vcc_lo
	v_add_nc_u32_e32 v7, 0x3cc, v3
	v_add_co_u32 v0, vcc_lo, v19, v0
	v_add_co_ci_u32_e32 v1, vcc_lo, v20, v1, vcc_lo
	v_lshlrev_b64 v[9:10], 2, v[7:8]
	v_add_nc_u32_e32 v7, 0x4bf, v3
	s_waitcnt lgkmcnt(0)
	global_store_dword v[4:5], v11, off
	global_store_dword v[0:1], v12, off
	ds_read2_b32 v[0:1], v2 offset0:12 offset1:255
	ds_read2_b32 v[11:12], v6 offset0:2 offset1:245
	v_add_nc_u32_e32 v2, 0x1e40, v17
	v_lshlrev_b64 v[4:5], 2, v[7:8]
	v_add_nc_u32_e32 v7, 0x5b2, v3
	v_add_co_u32 v9, vcc_lo, v19, v9
	v_add_co_ci_u32_e32 v10, vcc_lo, v20, v10, vcc_lo
	v_lshlrev_b64 v[13:14], 2, v[7:8]
	v_add_nc_u32_e32 v7, 0x6a5, v3
	v_add_co_u32 v4, vcc_lo, v19, v4
	v_add_co_ci_u32_e32 v5, vcc_lo, v20, v5, vcc_lo
	v_add_co_u32 v13, vcc_lo, v19, v13
	v_lshlrev_b64 v[15:16], 2, v[7:8]
	v_add_nc_u32_e32 v7, 0x798, v3
	v_add_co_ci_u32_e32 v14, vcc_lo, v20, v14, vcc_lo
	s_waitcnt lgkmcnt(1)
	global_store_dword v[9:10], v0, off
	global_store_dword v[4:5], v1, off
	s_waitcnt lgkmcnt(0)
	global_store_dword v[13:14], v11, off
	v_lshlrev_b64 v[0:1], 2, v[7:8]
	v_add_nc_u32_e32 v7, 0x88b, v3
	v_add_nc_u32_e32 v6, 0x25e0, v17
	v_add_co_u32 v4, vcc_lo, v19, v15
	ds_read2_b32 v[9:10], v2 offset0:8 offset1:251
	v_lshlrev_b64 v[13:14], 2, v[7:8]
	v_add_nc_u32_e32 v7, 0x97e, v3
	v_add_co_ci_u32_e32 v5, vcc_lo, v20, v16, vcc_lo
	ds_read2_b32 v[15:16], v6 offset0:6 offset1:249
	v_add_co_u32 v0, vcc_lo, v19, v0
	v_lshlrev_b64 v[17:18], 2, v[7:8]
	v_add_nc_u32_e32 v7, 0xa71, v3
	v_add_co_ci_u32_e32 v1, vcc_lo, v20, v1, vcc_lo
	v_add_co_u32 v2, vcc_lo, v19, v13
	v_lshlrev_b64 v[6:7], 2, v[7:8]
	v_add_co_ci_u32_e32 v3, vcc_lo, v20, v14, vcc_lo
	v_add_co_u32 v13, vcc_lo, v19, v17
	v_add_co_ci_u32_e32 v14, vcc_lo, v20, v18, vcc_lo
	v_add_co_u32 v6, vcc_lo, v19, v6
	v_add_co_ci_u32_e32 v7, vcc_lo, v20, v7, vcc_lo
	global_store_dword v[4:5], v12, off
	s_waitcnt lgkmcnt(1)
	global_store_dword v[0:1], v9, off
	global_store_dword v[2:3], v10, off
	s_waitcnt lgkmcnt(0)
	global_store_dword v[13:14], v15, off
	global_store_dword v[6:7], v16, off
.LBB0_21:
	s_endpgm
	.section	.rodata,"a",@progbits
	.p2align	6, 0x0
	.amdhsa_kernel fft_rtc_fwd_len2916_factors_6_6_3_3_3_3_wgs_243_tpt_243_halfLds_half_op_CI_CI_unitstride_sbrr_C2R_dirReg
		.amdhsa_group_segment_fixed_size 0
		.amdhsa_private_segment_fixed_size 0
		.amdhsa_kernarg_size 104
		.amdhsa_user_sgpr_count 6
		.amdhsa_user_sgpr_private_segment_buffer 1
		.amdhsa_user_sgpr_dispatch_ptr 0
		.amdhsa_user_sgpr_queue_ptr 0
		.amdhsa_user_sgpr_kernarg_segment_ptr 1
		.amdhsa_user_sgpr_dispatch_id 0
		.amdhsa_user_sgpr_flat_scratch_init 0
		.amdhsa_user_sgpr_private_segment_size 0
		.amdhsa_wavefront_size32 1
		.amdhsa_uses_dynamic_stack 0
		.amdhsa_system_sgpr_private_segment_wavefront_offset 0
		.amdhsa_system_sgpr_workgroup_id_x 1
		.amdhsa_system_sgpr_workgroup_id_y 0
		.amdhsa_system_sgpr_workgroup_id_z 0
		.amdhsa_system_sgpr_workgroup_info 0
		.amdhsa_system_vgpr_workitem_id 0
		.amdhsa_next_free_vgpr 63
		.amdhsa_next_free_sgpr 27
		.amdhsa_reserve_vcc 1
		.amdhsa_reserve_flat_scratch 0
		.amdhsa_float_round_mode_32 0
		.amdhsa_float_round_mode_16_64 0
		.amdhsa_float_denorm_mode_32 3
		.amdhsa_float_denorm_mode_16_64 3
		.amdhsa_dx10_clamp 1
		.amdhsa_ieee_mode 1
		.amdhsa_fp16_overflow 0
		.amdhsa_workgroup_processor_mode 1
		.amdhsa_memory_ordered 1
		.amdhsa_forward_progress 0
		.amdhsa_shared_vgpr_count 0
		.amdhsa_exception_fp_ieee_invalid_op 0
		.amdhsa_exception_fp_denorm_src 0
		.amdhsa_exception_fp_ieee_div_zero 0
		.amdhsa_exception_fp_ieee_overflow 0
		.amdhsa_exception_fp_ieee_underflow 0
		.amdhsa_exception_fp_ieee_inexact 0
		.amdhsa_exception_int_div_zero 0
	.end_amdhsa_kernel
	.text
.Lfunc_end0:
	.size	fft_rtc_fwd_len2916_factors_6_6_3_3_3_3_wgs_243_tpt_243_halfLds_half_op_CI_CI_unitstride_sbrr_C2R_dirReg, .Lfunc_end0-fft_rtc_fwd_len2916_factors_6_6_3_3_3_3_wgs_243_tpt_243_halfLds_half_op_CI_CI_unitstride_sbrr_C2R_dirReg
                                        ; -- End function
	.section	.AMDGPU.csdata,"",@progbits
; Kernel info:
; codeLenInByte = 9912
; NumSgprs: 29
; NumVgprs: 63
; ScratchSize: 0
; MemoryBound: 0
; FloatMode: 240
; IeeeMode: 1
; LDSByteSize: 0 bytes/workgroup (compile time only)
; SGPRBlocks: 3
; VGPRBlocks: 7
; NumSGPRsForWavesPerEU: 29
; NumVGPRsForWavesPerEU: 63
; Occupancy: 16
; WaveLimiterHint : 1
; COMPUTE_PGM_RSRC2:SCRATCH_EN: 0
; COMPUTE_PGM_RSRC2:USER_SGPR: 6
; COMPUTE_PGM_RSRC2:TRAP_HANDLER: 0
; COMPUTE_PGM_RSRC2:TGID_X_EN: 1
; COMPUTE_PGM_RSRC2:TGID_Y_EN: 0
; COMPUTE_PGM_RSRC2:TGID_Z_EN: 0
; COMPUTE_PGM_RSRC2:TIDIG_COMP_CNT: 0
	.text
	.p2alignl 6, 3214868480
	.fill 48, 4, 3214868480
	.type	__hip_cuid_91f57f58ed0ee1f7,@object ; @__hip_cuid_91f57f58ed0ee1f7
	.section	.bss,"aw",@nobits
	.globl	__hip_cuid_91f57f58ed0ee1f7
__hip_cuid_91f57f58ed0ee1f7:
	.byte	0                               ; 0x0
	.size	__hip_cuid_91f57f58ed0ee1f7, 1

	.ident	"AMD clang version 19.0.0git (https://github.com/RadeonOpenCompute/llvm-project roc-6.4.0 25133 c7fe45cf4b819c5991fe208aaa96edf142730f1d)"
	.section	".note.GNU-stack","",@progbits
	.addrsig
	.addrsig_sym __hip_cuid_91f57f58ed0ee1f7
	.amdgpu_metadata
---
amdhsa.kernels:
  - .args:
      - .actual_access:  read_only
        .address_space:  global
        .offset:         0
        .size:           8
        .value_kind:     global_buffer
      - .offset:         8
        .size:           8
        .value_kind:     by_value
      - .actual_access:  read_only
        .address_space:  global
        .offset:         16
        .size:           8
        .value_kind:     global_buffer
      - .actual_access:  read_only
        .address_space:  global
        .offset:         24
        .size:           8
        .value_kind:     global_buffer
      - .actual_access:  read_only
        .address_space:  global
        .offset:         32
        .size:           8
        .value_kind:     global_buffer
      - .offset:         40
        .size:           8
        .value_kind:     by_value
      - .actual_access:  read_only
        .address_space:  global
        .offset:         48
        .size:           8
        .value_kind:     global_buffer
      - .actual_access:  read_only
        .address_space:  global
        .offset:         56
        .size:           8
        .value_kind:     global_buffer
      - .offset:         64
        .size:           4
        .value_kind:     by_value
      - .actual_access:  read_only
        .address_space:  global
        .offset:         72
        .size:           8
        .value_kind:     global_buffer
      - .actual_access:  read_only
        .address_space:  global
        .offset:         80
        .size:           8
        .value_kind:     global_buffer
      - .actual_access:  read_only
        .address_space:  global
        .offset:         88
        .size:           8
        .value_kind:     global_buffer
      - .actual_access:  write_only
        .address_space:  global
        .offset:         96
        .size:           8
        .value_kind:     global_buffer
    .group_segment_fixed_size: 0
    .kernarg_segment_align: 8
    .kernarg_segment_size: 104
    .language:       OpenCL C
    .language_version:
      - 2
      - 0
    .max_flat_workgroup_size: 243
    .name:           fft_rtc_fwd_len2916_factors_6_6_3_3_3_3_wgs_243_tpt_243_halfLds_half_op_CI_CI_unitstride_sbrr_C2R_dirReg
    .private_segment_fixed_size: 0
    .sgpr_count:     29
    .sgpr_spill_count: 0
    .symbol:         fft_rtc_fwd_len2916_factors_6_6_3_3_3_3_wgs_243_tpt_243_halfLds_half_op_CI_CI_unitstride_sbrr_C2R_dirReg.kd
    .uniform_work_group_size: 1
    .uses_dynamic_stack: false
    .vgpr_count:     63
    .vgpr_spill_count: 0
    .wavefront_size: 32
    .workgroup_processor_mode: 1
amdhsa.target:   amdgcn-amd-amdhsa--gfx1030
amdhsa.version:
  - 1
  - 2
...

	.end_amdgpu_metadata
